;; amdgpu-corpus repo=ROCm/rocFFT kind=compiled arch=gfx1201 opt=O3
	.text
	.amdgcn_target "amdgcn-amd-amdhsa--gfx1201"
	.amdhsa_code_object_version 6
	.protected	fft_rtc_fwd_len91_factors_7_13_wgs_247_tpt_13_dp_ip_CI_unitstride_sbrr_dirReg ; -- Begin function fft_rtc_fwd_len91_factors_7_13_wgs_247_tpt_13_dp_ip_CI_unitstride_sbrr_dirReg
	.globl	fft_rtc_fwd_len91_factors_7_13_wgs_247_tpt_13_dp_ip_CI_unitstride_sbrr_dirReg
	.p2align	8
	.type	fft_rtc_fwd_len91_factors_7_13_wgs_247_tpt_13_dp_ip_CI_unitstride_sbrr_dirReg,@function
fft_rtc_fwd_len91_factors_7_13_wgs_247_tpt_13_dp_ip_CI_unitstride_sbrr_dirReg: ; @fft_rtc_fwd_len91_factors_7_13_wgs_247_tpt_13_dp_ip_CI_unitstride_sbrr_dirReg
; %bb.0:
	s_load_b128 s[4:7], s[0:1], 0x0
	v_mul_u32_u24_e32 v1, 0x13b2, v0
	s_clause 0x1
	s_load_b64 s[8:9], s[0:1], 0x50
	s_load_b64 s[10:11], s[0:1], 0x18
	v_mov_b32_e32 v3, 0
	v_lshrrev_b32_e32 v1, 16, v1
	s_delay_alu instid0(VALU_DEP_1) | instskip(SKIP_1) | instid1(VALU_DEP_4)
	v_mad_co_u64_u32 v[36:37], null, ttmp9, 19, v[1:2]
	v_mov_b32_e32 v1, 0
	v_dual_mov_b32 v2, 0 :: v_dual_mov_b32 v37, v3
	s_delay_alu instid0(VALU_DEP_1) | instskip(SKIP_2) | instid1(VALU_DEP_1)
	v_dual_mov_b32 v7, v36 :: v_dual_mov_b32 v8, v37
	s_wait_kmcnt 0x0
	v_cmp_lt_u64_e64 s2, s[6:7], 2
	s_and_b32 vcc_lo, exec_lo, s2
	s_cbranch_vccnz .LBB0_8
; %bb.1:
	s_load_b64 s[2:3], s[0:1], 0x10
	v_mov_b32_e32 v1, 0
	v_dual_mov_b32 v2, 0 :: v_dual_mov_b32 v5, v36
	v_mov_b32_e32 v6, v37
	s_add_nc_u64 s[12:13], s[10:11], 8
	s_mov_b64 s[14:15], 1
	s_wait_kmcnt 0x0
	s_add_nc_u64 s[16:17], s[2:3], 8
	s_mov_b32 s3, 0
.LBB0_2:                                ; =>This Inner Loop Header: Depth=1
	s_load_b64 s[18:19], s[16:17], 0x0
                                        ; implicit-def: $vgpr7_vgpr8
	s_mov_b32 s2, exec_lo
	s_wait_kmcnt 0x0
	v_or_b32_e32 v4, s19, v6
	s_delay_alu instid0(VALU_DEP_1)
	v_cmpx_ne_u64_e32 0, v[3:4]
	s_wait_alu 0xfffe
	s_xor_b32 s20, exec_lo, s2
	s_cbranch_execz .LBB0_4
; %bb.3:                                ;   in Loop: Header=BB0_2 Depth=1
	s_cvt_f32_u32 s2, s18
	s_cvt_f32_u32 s21, s19
	s_sub_nc_u64 s[24:25], 0, s[18:19]
	s_wait_alu 0xfffe
	s_delay_alu instid0(SALU_CYCLE_1) | instskip(SKIP_1) | instid1(SALU_CYCLE_2)
	s_fmamk_f32 s2, s21, 0x4f800000, s2
	s_wait_alu 0xfffe
	v_s_rcp_f32 s2, s2
	s_delay_alu instid0(TRANS32_DEP_1) | instskip(SKIP_1) | instid1(SALU_CYCLE_2)
	s_mul_f32 s2, s2, 0x5f7ffffc
	s_wait_alu 0xfffe
	s_mul_f32 s21, s2, 0x2f800000
	s_wait_alu 0xfffe
	s_delay_alu instid0(SALU_CYCLE_2) | instskip(SKIP_1) | instid1(SALU_CYCLE_2)
	s_trunc_f32 s21, s21
	s_wait_alu 0xfffe
	s_fmamk_f32 s2, s21, 0xcf800000, s2
	s_cvt_u32_f32 s23, s21
	s_wait_alu 0xfffe
	s_delay_alu instid0(SALU_CYCLE_1) | instskip(SKIP_1) | instid1(SALU_CYCLE_2)
	s_cvt_u32_f32 s22, s2
	s_wait_alu 0xfffe
	s_mul_u64 s[26:27], s[24:25], s[22:23]
	s_wait_alu 0xfffe
	s_mul_hi_u32 s29, s22, s27
	s_mul_i32 s28, s22, s27
	s_mul_hi_u32 s2, s22, s26
	s_mul_i32 s30, s23, s26
	s_wait_alu 0xfffe
	s_add_nc_u64 s[28:29], s[2:3], s[28:29]
	s_mul_hi_u32 s21, s23, s26
	s_mul_hi_u32 s31, s23, s27
	s_add_co_u32 s2, s28, s30
	s_wait_alu 0xfffe
	s_add_co_ci_u32 s2, s29, s21
	s_mul_i32 s26, s23, s27
	s_add_co_ci_u32 s27, s31, 0
	s_wait_alu 0xfffe
	s_add_nc_u64 s[26:27], s[2:3], s[26:27]
	s_wait_alu 0xfffe
	v_add_co_u32 v4, s2, s22, s26
	s_delay_alu instid0(VALU_DEP_1) | instskip(SKIP_1) | instid1(VALU_DEP_1)
	s_cmp_lg_u32 s2, 0
	s_add_co_ci_u32 s23, s23, s27
	v_readfirstlane_b32 s22, v4
	s_wait_alu 0xfffe
	s_delay_alu instid0(VALU_DEP_1)
	s_mul_u64 s[24:25], s[24:25], s[22:23]
	s_wait_alu 0xfffe
	s_mul_hi_u32 s27, s22, s25
	s_mul_i32 s26, s22, s25
	s_mul_hi_u32 s2, s22, s24
	s_mul_i32 s28, s23, s24
	s_wait_alu 0xfffe
	s_add_nc_u64 s[26:27], s[2:3], s[26:27]
	s_mul_hi_u32 s21, s23, s24
	s_mul_hi_u32 s22, s23, s25
	s_wait_alu 0xfffe
	s_add_co_u32 s2, s26, s28
	s_add_co_ci_u32 s2, s27, s21
	s_mul_i32 s24, s23, s25
	s_add_co_ci_u32 s25, s22, 0
	s_wait_alu 0xfffe
	s_add_nc_u64 s[24:25], s[2:3], s[24:25]
	s_wait_alu 0xfffe
	v_add_co_u32 v4, s2, v4, s24
	s_delay_alu instid0(VALU_DEP_1) | instskip(SKIP_1) | instid1(VALU_DEP_1)
	s_cmp_lg_u32 s2, 0
	s_add_co_ci_u32 s2, s23, s25
	v_mul_hi_u32 v13, v5, v4
	s_wait_alu 0xfffe
	v_mad_co_u64_u32 v[7:8], null, v5, s2, 0
	v_mad_co_u64_u32 v[9:10], null, v6, v4, 0
	;; [unrolled: 1-line block ×3, first 2 shown]
	s_delay_alu instid0(VALU_DEP_3) | instskip(SKIP_1) | instid1(VALU_DEP_4)
	v_add_co_u32 v4, vcc_lo, v13, v7
	s_wait_alu 0xfffd
	v_add_co_ci_u32_e32 v7, vcc_lo, 0, v8, vcc_lo
	s_delay_alu instid0(VALU_DEP_2) | instskip(SKIP_1) | instid1(VALU_DEP_2)
	v_add_co_u32 v4, vcc_lo, v4, v9
	s_wait_alu 0xfffd
	v_add_co_ci_u32_e32 v4, vcc_lo, v7, v10, vcc_lo
	s_wait_alu 0xfffd
	v_add_co_ci_u32_e32 v7, vcc_lo, 0, v12, vcc_lo
	s_delay_alu instid0(VALU_DEP_2) | instskip(SKIP_1) | instid1(VALU_DEP_2)
	v_add_co_u32 v4, vcc_lo, v4, v11
	s_wait_alu 0xfffd
	v_add_co_ci_u32_e32 v9, vcc_lo, 0, v7, vcc_lo
	s_delay_alu instid0(VALU_DEP_2) | instskip(SKIP_1) | instid1(VALU_DEP_3)
	v_mul_lo_u32 v10, s19, v4
	v_mad_co_u64_u32 v[7:8], null, s18, v4, 0
	v_mul_lo_u32 v11, s18, v9
	s_delay_alu instid0(VALU_DEP_2) | instskip(NEXT) | instid1(VALU_DEP_2)
	v_sub_co_u32 v7, vcc_lo, v5, v7
	v_add3_u32 v8, v8, v11, v10
	s_delay_alu instid0(VALU_DEP_1) | instskip(SKIP_1) | instid1(VALU_DEP_1)
	v_sub_nc_u32_e32 v10, v6, v8
	s_wait_alu 0xfffd
	v_subrev_co_ci_u32_e64 v10, s2, s19, v10, vcc_lo
	v_add_co_u32 v11, s2, v4, 2
	s_wait_alu 0xf1ff
	v_add_co_ci_u32_e64 v12, s2, 0, v9, s2
	v_sub_co_u32 v13, s2, v7, s18
	v_sub_co_ci_u32_e32 v8, vcc_lo, v6, v8, vcc_lo
	s_wait_alu 0xf1ff
	v_subrev_co_ci_u32_e64 v10, s2, 0, v10, s2
	s_delay_alu instid0(VALU_DEP_3) | instskip(NEXT) | instid1(VALU_DEP_3)
	v_cmp_le_u32_e32 vcc_lo, s18, v13
	v_cmp_eq_u32_e64 s2, s19, v8
	s_wait_alu 0xfffd
	v_cndmask_b32_e64 v13, 0, -1, vcc_lo
	v_cmp_le_u32_e32 vcc_lo, s19, v10
	s_wait_alu 0xfffd
	v_cndmask_b32_e64 v14, 0, -1, vcc_lo
	v_cmp_le_u32_e32 vcc_lo, s18, v7
	;; [unrolled: 3-line block ×3, first 2 shown]
	s_wait_alu 0xfffd
	v_cndmask_b32_e64 v15, 0, -1, vcc_lo
	v_cmp_eq_u32_e32 vcc_lo, s19, v10
	s_wait_alu 0xf1ff
	s_delay_alu instid0(VALU_DEP_2)
	v_cndmask_b32_e64 v7, v15, v7, s2
	s_wait_alu 0xfffd
	v_cndmask_b32_e32 v10, v14, v13, vcc_lo
	v_add_co_u32 v13, vcc_lo, v4, 1
	s_wait_alu 0xfffd
	v_add_co_ci_u32_e32 v14, vcc_lo, 0, v9, vcc_lo
	s_delay_alu instid0(VALU_DEP_3) | instskip(SKIP_2) | instid1(VALU_DEP_3)
	v_cmp_ne_u32_e32 vcc_lo, 0, v10
	s_wait_alu 0xfffd
	v_cndmask_b32_e32 v10, v13, v11, vcc_lo
	v_cndmask_b32_e32 v8, v14, v12, vcc_lo
	v_cmp_ne_u32_e32 vcc_lo, 0, v7
	s_wait_alu 0xfffd
	s_delay_alu instid0(VALU_DEP_2)
	v_dual_cndmask_b32 v7, v4, v10 :: v_dual_cndmask_b32 v8, v9, v8
.LBB0_4:                                ;   in Loop: Header=BB0_2 Depth=1
	s_wait_alu 0xfffe
	s_and_not1_saveexec_b32 s2, s20
	s_cbranch_execz .LBB0_6
; %bb.5:                                ;   in Loop: Header=BB0_2 Depth=1
	v_cvt_f32_u32_e32 v4, s18
	s_sub_co_i32 s20, 0, s18
	s_delay_alu instid0(VALU_DEP_1) | instskip(NEXT) | instid1(TRANS32_DEP_1)
	v_rcp_iflag_f32_e32 v4, v4
	v_mul_f32_e32 v4, 0x4f7ffffe, v4
	s_delay_alu instid0(VALU_DEP_1) | instskip(SKIP_1) | instid1(VALU_DEP_1)
	v_cvt_u32_f32_e32 v4, v4
	s_wait_alu 0xfffe
	v_mul_lo_u32 v7, s20, v4
	s_delay_alu instid0(VALU_DEP_1) | instskip(NEXT) | instid1(VALU_DEP_1)
	v_mul_hi_u32 v7, v4, v7
	v_add_nc_u32_e32 v4, v4, v7
	s_delay_alu instid0(VALU_DEP_1) | instskip(NEXT) | instid1(VALU_DEP_1)
	v_mul_hi_u32 v4, v5, v4
	v_mul_lo_u32 v7, v4, s18
	v_add_nc_u32_e32 v8, 1, v4
	s_delay_alu instid0(VALU_DEP_2) | instskip(NEXT) | instid1(VALU_DEP_1)
	v_sub_nc_u32_e32 v7, v5, v7
	v_subrev_nc_u32_e32 v9, s18, v7
	v_cmp_le_u32_e32 vcc_lo, s18, v7
	s_wait_alu 0xfffd
	s_delay_alu instid0(VALU_DEP_2) | instskip(NEXT) | instid1(VALU_DEP_1)
	v_dual_cndmask_b32 v7, v7, v9 :: v_dual_cndmask_b32 v4, v4, v8
	v_cmp_le_u32_e32 vcc_lo, s18, v7
	s_delay_alu instid0(VALU_DEP_2) | instskip(SKIP_1) | instid1(VALU_DEP_1)
	v_add_nc_u32_e32 v8, 1, v4
	s_wait_alu 0xfffd
	v_dual_cndmask_b32 v7, v4, v8 :: v_dual_mov_b32 v8, v3
.LBB0_6:                                ;   in Loop: Header=BB0_2 Depth=1
	s_wait_alu 0xfffe
	s_or_b32 exec_lo, exec_lo, s2
	s_load_b64 s[20:21], s[12:13], 0x0
	s_delay_alu instid0(VALU_DEP_1)
	v_mul_lo_u32 v4, v8, s18
	v_mul_lo_u32 v11, v7, s19
	v_mad_co_u64_u32 v[9:10], null, v7, s18, 0
	s_add_nc_u64 s[14:15], s[14:15], 1
	s_add_nc_u64 s[12:13], s[12:13], 8
	s_wait_alu 0xfffe
	v_cmp_ge_u64_e64 s2, s[14:15], s[6:7]
	s_add_nc_u64 s[16:17], s[16:17], 8
	s_delay_alu instid0(VALU_DEP_2) | instskip(NEXT) | instid1(VALU_DEP_3)
	v_add3_u32 v4, v10, v11, v4
	v_sub_co_u32 v5, vcc_lo, v5, v9
	s_wait_alu 0xfffd
	s_delay_alu instid0(VALU_DEP_2) | instskip(SKIP_3) | instid1(VALU_DEP_2)
	v_sub_co_ci_u32_e32 v4, vcc_lo, v6, v4, vcc_lo
	s_and_b32 vcc_lo, exec_lo, s2
	s_wait_kmcnt 0x0
	v_mul_lo_u32 v6, s21, v5
	v_mul_lo_u32 v4, s20, v4
	v_mad_co_u64_u32 v[1:2], null, s20, v5, v[1:2]
	s_delay_alu instid0(VALU_DEP_1)
	v_add3_u32 v2, v6, v2, v4
	s_wait_alu 0xfffe
	s_cbranch_vccnz .LBB0_8
; %bb.7:                                ;   in Loop: Header=BB0_2 Depth=1
	v_dual_mov_b32 v5, v7 :: v_dual_mov_b32 v6, v8
	s_branch .LBB0_2
.LBB0_8:
	s_lshl_b64 s[2:3], s[6:7], 3
	v_mul_hi_u32 v5, 0x13b13b14, v0
	s_wait_alu 0xfffe
	s_add_nc_u64 s[2:3], s[10:11], s[2:3]
                                        ; implicit-def: $vgpr26_vgpr27
                                        ; implicit-def: $vgpr22_vgpr23
                                        ; implicit-def: $vgpr18_vgpr19
                                        ; implicit-def: $vgpr14_vgpr15
                                        ; implicit-def: $vgpr10_vgpr11
	s_load_b64 s[2:3], s[2:3], 0x0
	s_load_b64 s[0:1], s[0:1], 0x20
	s_wait_kmcnt 0x0
	v_mul_lo_u32 v3, s2, v8
	v_mul_lo_u32 v4, s3, v7
	v_mad_co_u64_u32 v[1:2], null, s2, v7, v[1:2]
	v_cmp_gt_u64_e32 vcc_lo, s[0:1], v[7:8]
                                        ; implicit-def: $vgpr6_vgpr7
	s_delay_alu instid0(VALU_DEP_2) | instskip(SKIP_1) | instid1(VALU_DEP_2)
	v_add3_u32 v2, v4, v2, v3
	v_mul_u32_u24_e32 v3, 13, v5
	v_lshlrev_b64_e32 v[52:53], 4, v[1:2]
	s_delay_alu instid0(VALU_DEP_2)
	v_sub_nc_u32_e32 v102, v0, v3
                                        ; implicit-def: $vgpr2_vgpr3
	s_and_saveexec_b32 s1, vcc_lo
; %bb.9:
	v_mov_b32_e32 v103, 0
	s_delay_alu instid0(VALU_DEP_3) | instskip(SKIP_2) | instid1(VALU_DEP_3)
	v_add_co_u32 v2, s0, s8, v52
	s_wait_alu 0xf1ff
	v_add_co_ci_u32_e64 v3, s0, s9, v53, s0
	v_lshlrev_b64_e32 v[0:1], 4, v[102:103]
	s_delay_alu instid0(VALU_DEP_1) | instskip(SKIP_1) | instid1(VALU_DEP_2)
	v_add_co_u32 v24, s0, v2, v0
	s_wait_alu 0xf1ff
	v_add_co_ci_u32_e64 v25, s0, v3, v1, s0
	s_clause 0x6
	global_load_b128 v[0:3], v[24:25], off
	global_load_b128 v[4:7], v[24:25], off offset:208
	global_load_b128 v[8:11], v[24:25], off offset:416
	global_load_b128 v[12:15], v[24:25], off offset:624
	global_load_b128 v[16:19], v[24:25], off offset:832
	global_load_b128 v[20:23], v[24:25], off offset:1040
	global_load_b128 v[24:27], v[24:25], off offset:1248
; %bb.10:
	s_wait_alu 0xfffe
	s_or_b32 exec_lo, exec_lo, s1
	s_wait_loadcnt 0x0
	v_add_f64_e32 v[28:29], v[24:25], v[4:5]
	v_add_f64_e32 v[30:31], v[26:27], v[6:7]
	;; [unrolled: 1-line block ×6, first 2 shown]
	v_add_f64_e64 v[8:9], v[8:9], -v[20:21]
	v_add_f64_e64 v[10:11], v[10:11], -v[22:23]
	;; [unrolled: 1-line block ×6, first 2 shown]
	s_mov_b32 s0, 0x37e14327
	s_mov_b32 s1, 0x3fe948f6
	;; [unrolled: 1-line block ×10, first 2 shown]
                                        ; implicit-def: $vgpr50_vgpr51
	v_add_f64_e32 v[16:17], v[32:33], v[28:29]
	v_add_f64_e32 v[18:19], v[34:35], v[30:31]
	v_add_f64_e64 v[20:21], v[28:29], -v[37:38]
	v_add_f64_e64 v[22:23], v[30:31], -v[39:40]
	;; [unrolled: 1-line block ×10, first 2 shown]
	v_add_f64_e32 v[8:9], v[12:13], v[8:9]
	v_add_f64_e32 v[10:11], v[14:15], v[10:11]
	v_add_f64_e64 v[12:13], v[4:5], -v[12:13]
	v_add_f64_e64 v[14:15], v[6:7], -v[14:15]
	v_add_f64_e32 v[16:17], v[37:38], v[16:17]
	v_add_f64_e32 v[18:19], v[39:40], v[18:19]
	s_wait_alu 0xfffe
	v_mul_f64_e32 v[20:21], s[0:1], v[20:21]
	v_mul_f64_e32 v[22:23], s[0:1], v[22:23]
	s_mov_b32 s0, 0x429ad128
	v_mul_f64_e32 v[32:33], s[2:3], v[24:25]
	v_mul_f64_e32 v[34:35], s[2:3], v[26:27]
	;; [unrolled: 1-line block ×4, first 2 shown]
	s_mov_b32 s1, 0x3febfeb5
	s_mov_b32 s6, 0xaaaaaaaa
	s_wait_alu 0xfffe
	v_mul_f64_e32 v[41:42], s[0:1], v[45:46]
	v_mul_f64_e32 v[43:44], s[0:1], v[47:48]
	s_mov_b32 s7, 0xbff2aaaa
	v_add_f64_e32 v[4:5], v[8:9], v[4:5]
	v_add_f64_e32 v[6:7], v[10:11], v[6:7]
	;; [unrolled: 1-line block ×4, first 2 shown]
	v_fma_f64 v[8:9], v[24:25], s[2:3], v[20:21]
	v_fma_f64 v[10:11], v[26:27], s[2:3], v[22:23]
	v_fma_f64 v[24:25], v[28:29], s[10:11], -v[32:33]
	v_fma_f64 v[26:27], v[30:31], s[10:11], -v[34:35]
	s_mov_b32 s11, 0xbfe77f67
	v_fma_f64 v[32:33], v[12:13], s[12:13], v[37:38]
	v_fma_f64 v[34:35], v[14:15], s[12:13], v[39:40]
	s_mov_b32 s13, 0xbfd5d0dc
	v_fma_f64 v[37:38], v[45:46], s[0:1], -v[37:38]
	v_fma_f64 v[39:40], v[47:48], s[0:1], -v[39:40]
	s_wait_alu 0xfffe
	v_fma_f64 v[12:13], v[12:13], s[12:13], -v[41:42]
	v_fma_f64 v[14:15], v[14:15], s[12:13], -v[43:44]
	;; [unrolled: 1-line block ×4, first 2 shown]
	s_mov_b32 s0, 0x37c3f68c
	s_mov_b32 s1, 0x3fdc38aa
                                        ; implicit-def: $vgpr46_vgpr47
	v_fma_f64 v[16:17], v[16:17], s[6:7], v[0:1]
	v_fma_f64 v[18:19], v[18:19], s[6:7], v[2:3]
	s_wait_alu 0xfffe
	v_fma_f64 v[41:42], v[4:5], s[0:1], v[32:33]
	v_fma_f64 v[43:44], v[6:7], s[0:1], v[34:35]
	;; [unrolled: 1-line block ×6, first 2 shown]
	v_mul_hi_u32 v4, 0xaf286bcb, v36
	v_cmp_gt_u32_e64 s0, 7, v102
                                        ; implicit-def: $vgpr38_vgpr39
	s_delay_alu instid0(VALU_DEP_2) | instskip(NEXT) | instid1(VALU_DEP_1)
	v_sub_nc_u32_e32 v5, v36, v4
	v_lshrrev_b32_e32 v5, 1, v5
	s_delay_alu instid0(VALU_DEP_1)
	v_add_nc_u32_e32 v37, v5, v4
	v_add_f64_e32 v[8:9], v[8:9], v[16:17]
	v_add_f64_e32 v[10:11], v[10:11], v[18:19]
	;; [unrolled: 1-line block ×7, first 2 shown]
	v_add_f64_e64 v[18:19], v[10:11], -v[41:42]
	v_add_f64_e32 v[4:5], v[14:15], v[20:21]
	v_add_f64_e64 v[6:7], v[22:23], -v[12:13]
	v_add_f64_e64 v[24:25], v[32:33], -v[28:29]
	v_add_f64_e32 v[26:27], v[30:31], v[34:35]
	v_add_f64_e32 v[28:29], v[28:29], v[32:33]
	v_add_f64_e64 v[30:31], v[34:35], -v[30:31]
	v_add_f64_e64 v[32:33], v[20:21], -v[14:15]
	v_add_f64_e32 v[34:35], v[12:13], v[22:23]
	v_add_f64_e64 v[8:9], v[8:9], -v[43:44]
	v_add_f64_e32 v[10:11], v[41:42], v[10:11]
	v_lshrrev_b32_e32 v12, 4, v37
                                        ; implicit-def: $vgpr22_vgpr23
                                        ; implicit-def: $vgpr42_vgpr43
	s_delay_alu instid0(VALU_DEP_1) | instskip(NEXT) | instid1(VALU_DEP_1)
	v_mul_lo_u32 v12, v12, 19
	v_sub_nc_u32_e32 v13, v36, v12
	v_mad_u32_u24 v12, 0x70, v102, 0
	s_delay_alu instid0(VALU_DEP_2) | instskip(NEXT) | instid1(VALU_DEP_1)
	v_mul_u32_u24_e32 v13, 0x5b, v13
	v_lshl_add_u32 v14, v13, 4, v12
	ds_store_b128 v14, v[0:3]
	ds_store_b128 v14, v[16:19] offset:16
	ds_store_b128 v14, v[4:7] offset:32
	;; [unrolled: 1-line block ×6, first 2 shown]
	global_wb scope:SCOPE_SE
	s_wait_dscnt 0x0
	s_barrier_signal -1
	s_barrier_wait -1
	global_inv scope:SCOPE_SE
                                        ; implicit-def: $vgpr14_vgpr15
	s_and_saveexec_b32 s1, s0
	s_cbranch_execnz .LBB0_13
; %bb.11:
	s_wait_alu 0xfffe
	s_or_b32 exec_lo, exec_lo, s1
	s_and_b32 s0, vcc_lo, s0
	s_wait_alu 0xfffe
	s_and_saveexec_b32 s1, s0
	s_cbranch_execnz .LBB0_14
.LBB0_12:
	s_endpgm
.LBB0_13:
	v_lshlrev_b32_e32 v0, 4, v13
	v_lshlrev_b32_e32 v1, 4, v102
	v_mul_i32_i24_e32 v2, 0xffffffa0, v102
	s_delay_alu instid0(VALU_DEP_2) | instskip(NEXT) | instid1(VALU_DEP_2)
	v_add3_u32 v1, 0, v0, v1
	v_add3_u32 v48, v12, v2, v0
	ds_load_b128 v[0:3], v1
	ds_load_b128 v[16:19], v48 offset:112
	ds_load_b128 v[4:7], v48 offset:224
	;; [unrolled: 1-line block ×12, first 2 shown]
	s_wait_alu 0xfffe
	s_or_b32 exec_lo, exec_lo, s1
	s_and_b32 s0, vcc_lo, s0
	s_wait_alu 0xfffe
	s_and_saveexec_b32 s1, s0
	s_cbranch_execz .LBB0_12
.LBB0_14:
	scratch_store_b64 off, v[52:53], off    ; 8-byte Folded Spill
	v_mul_u32_u24_e32 v52, 12, v102
	s_mov_b32 s0, 0xebaa3ed8
	s_mov_b32 s16, 0x66966769
	;; [unrolled: 1-line block ×4, first 2 shown]
	v_lshlrev_b32_e32 v52, 4, v52
	s_mov_b32 s6, 0x1ea71119
	s_mov_b32 s2, 0x93053d00
	;; [unrolled: 1-line block ×3, first 2 shown]
	s_clause 0xb
	global_load_b128 v[68:71], v52, s[4:5]
	global_load_b128 v[80:83], v52, s[4:5] offset:176
	global_load_b128 v[72:75], v52, s[4:5] offset:64
	;; [unrolled: 1-line block ×11, first 2 shown]
	s_mov_b32 s4, 0xd0032e0c
	s_mov_b32 s28, 0x42a4c3d2
	;; [unrolled: 1-line block ×23, first 2 shown]
	s_wait_alu 0xfffe
	s_mov_b32 s36, s14
	s_mov_b32 s30, s26
	;; [unrolled: 1-line block ×6, first 2 shown]
	s_wait_loadcnt_dscnt 0xb0b
	v_mul_f64_e32 v[123:124], v[18:19], v[70:71]
	v_mul_f64_e32 v[103:104], v[18:19], v[68:69]
	s_wait_loadcnt_dscnt 0x907
	v_mul_f64_e32 v[107:108], v[34:35], v[72:73]
	s_wait_loadcnt 0x8
	v_mul_f64_e32 v[109:110], v[30:31], v[76:77]
	s_wait_dscnt 0x0
	v_mul_f64_e32 v[125:126], v[50:51], v[82:83]
	s_wait_loadcnt 0x6
	v_mul_f64_e32 v[113:114], v[6:7], v[60:61]
	s_wait_loadcnt 0x5
	v_mul_f64_e32 v[115:116], v[22:23], v[64:65]
	v_mul_f64_e32 v[131:132], v[30:31], v[78:79]
	s_wait_loadcnt 0x3
	v_mul_f64_e32 v[119:120], v[42:43], v[92:93]
	v_mul_f64_e32 v[133:134], v[42:43], v[94:95]
	;; [unrolled: 1-line block ×7, first 2 shown]
	s_wait_loadcnt 0x2
	v_mul_f64_e32 v[121:122], v[38:39], v[88:89]
	v_mul_f64_e32 v[127:128], v[26:27], v[86:87]
	;; [unrolled: 1-line block ×5, first 2 shown]
	v_fma_f64 v[68:69], v[16:17], v[68:69], -v[123:124]
	v_fma_f64 v[70:71], v[16:17], v[70:71], v[103:104]
	v_fma_f64 v[34:35], v[32:33], v[74:75], v[107:108]
	;; [unrolled: 1-line block ×3, first 2 shown]
	s_wait_loadcnt 0x0
	v_mul_f64_e32 v[74:75], v[14:15], v[52:53]
	v_fma_f64 v[50:51], v[4:5], v[62:63], v[113:114]
	v_fma_f64 v[18:19], v[20:21], v[66:67], v[115:116]
	v_mul_f64_e32 v[66:67], v[10:11], v[58:59]
	v_fma_f64 v[26:27], v[40:41], v[94:95], v[119:120]
	v_mul_f64_e32 v[62:63], v[10:11], v[56:57]
	v_mul_f64_e32 v[78:79], v[14:15], v[54:55]
	v_fma_f64 v[10:11], v[48:49], v[80:81], -v[125:126]
	v_fma_f64 v[42:43], v[28:29], v[76:77], -v[131:132]
	;; [unrolled: 1-line block ×6, first 2 shown]
	v_fma_f64 v[6:7], v[48:49], v[82:83], v[105:106]
	v_fma_f64 v[46:47], v[24:25], v[86:87], v[111:112]
	v_fma_f64 v[30:31], v[36:37], v[90:91], v[121:122]
	v_fma_f64 v[48:49], v[24:25], v[84:85], -v[127:128]
	v_fma_f64 v[24:25], v[36:37], v[88:89], -v[137:138]
	v_fma_f64 v[22:23], v[44:45], v[98:99], v[117:118]
	v_fma_f64 v[14:15], v[44:45], v[96:97], -v[129:130]
	v_fma_f64 v[20:21], v[12:13], v[54:55], v[74:75]
	v_add_f64_e32 v[54:55], v[2:3], v[70:71]
	v_add_f64_e32 v[64:65], v[50:51], v[18:19]
	v_fma_f64 v[32:33], v[8:9], v[56:57], -v[66:67]
	v_add_f64_e32 v[56:57], v[0:1], v[68:69]
	v_fma_f64 v[36:37], v[8:9], v[58:59], v[62:63]
	v_fma_f64 v[8:9], v[12:13], v[52:53], -v[78:79]
	v_add_f64_e64 v[12:13], v[68:69], -v[10:11]
	v_add_f64_e32 v[52:53], v[68:69], v[10:11]
	v_add_f64_e32 v[76:77], v[38:39], v[26:27]
	v_add_f64_e64 v[62:63], v[42:43], -v[16:17]
	v_add_f64_e64 v[84:85], v[38:39], -v[26:27]
	;; [unrolled: 1-line block ×3, first 2 shown]
	v_add_f64_e32 v[74:75], v[40:41], v[4:5]
	v_add_f64_e32 v[44:45], v[70:71], v[6:7]
	v_add_f64_e64 v[60:61], v[70:71], -v[6:7]
	v_add_f64_e64 v[70:71], v[50:51], -v[18:19]
	v_add_f64_e32 v[80:81], v[34:35], v[30:31]
	v_add_f64_e32 v[72:73], v[46:47], v[22:23]
	v_add_f64_e64 v[78:79], v[46:47], -v[22:23]
	v_add_f64_e64 v[58:59], v[48:49], -v[14:15]
	;; [unrolled: 1-line block ×3, first 2 shown]
	v_add_f64_e32 v[82:83], v[48:49], v[14:15]
	v_add_f64_e32 v[86:87], v[42:43], v[16:17]
	;; [unrolled: 1-line block ×3, first 2 shown]
	v_mul_f64_e32 v[111:112], s[10:11], v[64:65]
	v_mul_f64_e32 v[119:120], s[0:1], v[64:65]
	v_add_f64_e32 v[40:41], v[40:41], v[56:57]
	v_mul_f64_e32 v[145:146], s[4:5], v[64:65]
	v_mul_f64_e32 v[147:148], s[2:3], v[64:65]
	;; [unrolled: 1-line block ×15, first 2 shown]
	s_wait_alu 0xfffe
	v_mul_f64_e32 v[98:99], s[22:23], v[60:61]
	v_mul_f64_e32 v[103:104], s[30:31], v[60:61]
	v_mul_f64_e32 v[105:106], s[36:37], v[60:61]
	v_mul_f64_e32 v[107:108], s[16:17], v[60:61]
	v_mul_f64_e32 v[109:110], s[28:29], v[60:61]
	v_mul_f64_e32 v[60:61], s[18:19], v[60:61]
	v_mul_f64_e32 v[113:114], s[4:5], v[72:73]
	v_mul_f64_e32 v[117:118], s[12:13], v[80:81]
	v_mul_f64_e32 v[121:122], s[6:7], v[72:73]
	v_mul_f64_e32 v[125:126], s[10:11], v[80:81]
	v_mul_f64_e32 v[127:128], s[2:3], v[80:81]
	v_mul_f64_e32 v[129:130], s[6:7], v[80:81]
	v_mul_f64_e32 v[131:132], s[0:1], v[80:81]
	v_mul_f64_e32 v[80:81], s[4:5], v[80:81]
	v_mul_f64_e32 v[76:77], s[12:13], v[76:77]
	v_mul_f64_e32 v[139:140], s[10:11], v[72:73]
	v_mul_f64_e32 v[141:142], s[12:13], v[72:73]
	v_mul_f64_e32 v[143:144], s[2:3], v[72:73]
	v_mul_f64_e32 v[72:73], s[0:1], v[72:73]
	v_add_f64_e32 v[46:47], v[46:47], v[50:51]
	v_mul_f64_e32 v[54:55], s[24:25], v[70:71]
	v_mul_f64_e32 v[56:57], s[38:39], v[70:71]
	v_add_f64_e32 v[40:41], v[48:49], v[40:41]
	v_mul_f64_e32 v[151:152], s[26:27], v[70:71]
	v_mul_f64_e32 v[153:154], s[22:23], v[70:71]
	;; [unrolled: 1-line block ×13, first 2 shown]
	v_fma_f64 v[173:174], v[12:13], s[20:21], v[88:89]
	v_fma_f64 v[88:89], v[12:13], s[22:23], v[88:89]
	;; [unrolled: 1-line block ×13, first 2 shown]
	v_fma_f64 v[98:99], v[52:53], s[2:3], -v[98:99]
	v_fma_f64 v[185:186], v[52:53], s[4:5], v[103:104]
	v_fma_f64 v[103:104], v[52:53], s[4:5], -v[103:104]
	v_fma_f64 v[187:188], v[52:53], s[12:13], v[105:106]
	;; [unrolled: 2-line block ×4, first 2 shown]
	v_add_f64_e32 v[38:39], v[38:39], v[46:47]
	v_fma_f64 v[109:110], v[52:53], s[6:7], -v[109:110]
	v_fma_f64 v[193:194], v[52:53], s[10:11], v[60:61]
	v_add_f64_e32 v[40:41], v[42:43], v[40:41]
	v_fma_f64 v[52:53], v[52:53], s[10:11], -v[60:61]
	v_fma_f64 v[60:61], v[58:59], s[26:27], v[113:114]
	v_fma_f64 v[195:196], v[62:63], s[28:29], v[115:116]
	v_fma_f64 v[197:198], v[66:67], s[14:15], v[117:118]
	v_fma_f64 v[113:114], v[58:59], s[30:31], v[113:114]
	v_fma_f64 v[115:116], v[62:63], s[34:35], v[115:116]
	v_fma_f64 v[117:118], v[66:67], s[36:37], v[117:118]
	v_fma_f64 v[199:200], v[58:59], s[34:35], v[121:122]
	v_fma_f64 v[201:202], v[62:63], s[22:23], v[123:124]
	v_fma_f64 v[203:204], v[66:67], s[18:19], v[125:126]
	v_fma_f64 v[121:122], v[58:59], s[28:29], v[121:122]
	v_fma_f64 v[123:124], v[62:63], s[20:21], v[123:124]
	v_fma_f64 v[125:126], v[66:67], s[24:25], v[125:126]
	v_fma_f64 v[205:206], v[66:67], s[22:23], v[127:128]
	v_fma_f64 v[127:128], v[66:67], s[20:21], v[127:128]
	v_fma_f64 v[207:208], v[66:67], s[34:35], v[129:130]
	v_fma_f64 v[129:130], v[66:67], s[28:29], v[129:130]
	v_fma_f64 v[209:210], v[66:67], s[16:17], v[131:132]
	v_fma_f64 v[131:132], v[66:67], s[38:39], v[131:132]
	v_fma_f64 v[211:212], v[66:67], s[26:27], v[80:81]
	v_fma_f64 v[66:67], v[66:67], s[30:31], v[80:81]
	v_fma_f64 v[80:81], v[62:63], s[38:39], v[133:134]
	v_fma_f64 v[133:134], v[62:63], s[16:17], v[133:134]
	v_fma_f64 v[213:214], v[62:63], s[18:19], v[135:136]
	v_fma_f64 v[135:136], v[62:63], s[24:25], v[135:136]
	v_fma_f64 v[215:216], v[62:63], s[30:31], v[137:138]
	v_fma_f64 v[137:138], v[62:63], s[26:27], v[137:138]
	v_fma_f64 v[217:218], v[62:63], s[14:15], v[76:77]
	v_fma_f64 v[62:63], v[62:63], s[36:37], v[76:77]
	v_fma_f64 v[76:77], v[58:59], s[18:19], v[139:140]
	v_fma_f64 v[139:140], v[58:59], s[24:25], v[139:140]
	v_fma_f64 v[219:220], v[58:59], s[36:37], v[141:142]
	v_fma_f64 v[141:142], v[58:59], s[14:15], v[141:142]
	v_fma_f64 v[221:222], v[58:59], s[20:21], v[143:144]
	v_fma_f64 v[143:144], v[58:59], s[22:23], v[143:144]
	v_fma_f64 v[223:224], v[58:59], s[38:39], v[72:73]
	v_fma_f64 v[58:59], v[58:59], s[16:17], v[72:73]
	v_add_f64_e32 v[40:41], v[28:29], v[40:41]
	v_fma_f64 v[72:73], v[68:69], s[18:19], v[111:112]
	v_fma_f64 v[50:51], v[68:69], s[24:25], v[111:112]
	;; [unrolled: 1-line block ×13, first 2 shown]
	v_fma_f64 v[54:55], v[74:75], s[10:11], -v[54:55]
	v_fma_f64 v[231:232], v[74:75], s[0:1], v[56:57]
	v_fma_f64 v[56:57], v[74:75], s[0:1], -v[56:57]
	v_fma_f64 v[233:234], v[74:75], s[4:5], v[151:152]
	;; [unrolled: 2-line block ×11, first 2 shown]
	v_fma_f64 v[78:79], v[82:83], s[0:1], -v[78:79]
	v_mul_f64_e32 v[82:83], s[24:25], v[84:85]
	v_mul_f64_e32 v[46:47], s[26:27], v[84:85]
	;; [unrolled: 1-line block ×3, first 2 shown]
	v_add_f64_e32 v[38:39], v[34:35], v[38:39]
	v_add_f64_e32 v[40:41], v[32:33], v[40:41]
	;; [unrolled: 1-line block ×4, first 2 shown]
	v_fma_f64 v[42:43], v[86:87], s[6:7], v[167:168]
	v_fma_f64 v[167:168], v[86:87], s[6:7], -v[167:168]
	v_add_f64_e32 v[88:89], v[2:3], v[88:89]
	v_add_f64_e32 v[98:99], v[0:1], v[98:99]
	;; [unrolled: 1-line block ×22, first 2 shown]
	v_fma_f64 v[12:13], v[86:87], s[2:3], v[169:170]
	v_fma_f64 v[52:53], v[86:87], s[2:3], -v[169:170]
	v_fma_f64 v[169:170], v[86:87], s[0:1], v[171:172]
	v_fma_f64 v[171:172], v[86:87], s[0:1], -v[171:172]
	v_add_f64_e64 v[34:35], v[34:35], -v[30:31]
	v_add_f64_e32 v[28:29], v[28:29], v[24:25]
	v_fma_f64 v[251:252], v[86:87], s[10:11], v[82:83]
	v_fma_f64 v[82:83], v[86:87], s[10:11], -v[82:83]
	v_fma_f64 v[253:254], v[86:87], s[4:5], v[46:47]
	v_fma_f64 v[46:47], v[86:87], s[4:5], -v[46:47]
	v_fma_f64 v[100:101], v[86:87], s[12:13], v[84:85]
	v_fma_f64 v[84:85], v[86:87], s[12:13], -v[84:85]
	v_add_f64_e32 v[38:39], v[36:37], v[38:39]
	v_add_f64_e64 v[86:87], v[32:33], -v[8:9]
	v_add_f64_e32 v[32:33], v[32:33], v[8:9]
	v_add_f64_e32 v[8:9], v[8:9], v[40:41]
	;; [unrolled: 1-line block ×6, first 2 shown]
	v_add_f64_e64 v[36:37], v[36:37], -v[20:21]
	v_add_f64_e32 v[54:55], v[54:55], v[98:99]
	v_add_f64_e32 v[88:89], v[111:112], v[175:176]
	;; [unrolled: 1-line block ×20, first 2 shown]
	v_mul_f64_e32 v[40:41], s[24:25], v[34:35]
	v_mul_f64_e32 v[98:99], s[20:21], v[34:35]
	v_mul_f64_e32 v[173:174], s[28:29], v[34:35]
	v_mul_f64_e32 v[119:120], s[38:39], v[34:35]
	v_add_f64_e32 v[20:21], v[20:21], v[38:39]
	v_mul_f64_e32 v[38:39], s[36:37], v[34:35]
	v_mul_f64_e32 v[34:35], s[30:31], v[34:35]
	v_add_f64_e32 v[8:9], v[24:25], v[8:9]
	v_add_f64_e32 v[24:25], v[239:240], v[193:194]
	;; [unrolled: 1-line block ×4, first 2 shown]
	v_mul_f64_e32 v[103:104], s[0:1], v[68:69]
	v_mul_f64_e32 v[187:188], s[12:13], v[68:69]
	v_add_f64_e32 v[54:55], v[157:158], v[54:55]
	v_mul_f64_e32 v[225:226], s[4:5], v[68:69]
	v_add_f64_e32 v[74:75], v[121:122], v[90:91]
	v_add_f64_e32 v[56:57], v[159:160], v[56:57]
	;; [unrolled: 1-line block ×5, first 2 shown]
	v_mul_f64_e32 v[177:178], s[38:39], v[36:37]
	v_add_f64_e32 v[48:49], v[221:222], v[48:49]
	v_add_f64_e32 v[113:114], v[247:248], v[181:182]
	v_add_f64_e32 v[94:95], v[143:144], v[96:97]
	v_mul_f64_e32 v[145:146], s[36:37], v[36:37]
	v_mul_f64_e32 v[151:152], s[6:7], v[68:69]
	v_add_f64_e32 v[96:97], v[165:166], v[109:110]
	v_add_f64_e32 v[2:3], v[58:59], v[2:3]
	v_add_f64_e32 v[109:110], v[219:220], v[179:180]
	v_add_f64_e32 v[107:108], v[163:164], v[107:108]
	v_add_f64_e32 v[105:106], v[161:162], v[105:106]
	v_add_f64_e32 v[0:1], v[78:79], v[0:1]
	v_add_f64_e32 v[121:122], v[223:224], v[183:184]
	v_fma_f64 v[64:65], v[28:29], s[10:11], v[40:41]
	v_fma_f64 v[40:41], v[28:29], s[10:11], -v[40:41]
	v_fma_f64 v[70:71], v[28:29], s[2:3], v[98:99]
	v_fma_f64 v[98:99], v[28:29], s[2:3], -v[98:99]
	v_fma_f64 v[191:192], v[28:29], s[6:7], v[173:174]
	v_fma_f64 v[173:174], v[28:29], s[6:7], -v[173:174]
	v_fma_f64 v[193:194], v[28:29], s[0:1], v[119:120]
	v_fma_f64 v[119:120], v[28:29], s[0:1], -v[119:120]
	v_mul_f64_e32 v[147:148], s[10:11], v[68:69]
	v_add_f64_e32 v[20:21], v[30:31], v[20:21]
	v_fma_f64 v[30:31], v[28:29], s[12:13], v[38:39]
	v_fma_f64 v[38:39], v[28:29], s[12:13], -v[38:39]
	v_fma_f64 v[227:228], v[28:29], s[4:5], v[34:35]
	v_fma_f64 v[28:29], v[28:29], s[4:5], -v[34:35]
	v_add_f64_e32 v[34:35], v[60:61], v[72:73]
	v_add_f64_e32 v[60:61], v[199:200], v[88:89]
	v_add_f64_e32 v[8:9], v[16:17], v[8:9]
	v_add_f64_e32 v[16:17], v[249:250], v[24:25]
	v_add_f64_e32 v[42:43], v[42:43], v[44:45]
	v_add_f64_e32 v[44:45], v[115:116], v[50:51]
	v_add_f64_e32 v[50:51], v[167:168], v[54:55]
	v_add_f64_e32 v[52:53], v[52:53], v[56:57]
	v_add_f64_e32 v[56:57], v[80:81], v[76:77]
	v_fma_f64 v[24:25], v[86:87], s[16:17], v[103:104]
	v_add_f64_e32 v[76:77], v[135:136], v[92:93]
	v_fma_f64 v[58:59], v[86:87], s[38:39], v[103:104]
	v_fma_f64 v[103:104], v[86:87], s[14:15], v[187:188]
	;; [unrolled: 1-line block ×3, first 2 shown]
	v_add_f64_e32 v[80:81], v[137:138], v[94:95]
	v_add_f64_e32 v[72:73], v[241:242], v[111:112]
	v_add_f64_e32 v[88:89], v[243:244], v[185:186]
	v_add_f64_e32 v[111:112], v[245:246], v[189:190]
	v_mul_f64_e32 v[68:69], s[2:3], v[68:69]
	v_mul_f64_e32 v[149:150], s[34:35], v[36:37]
	;; [unrolled: 1-line block ×5, first 2 shown]
	v_add_f64_e32 v[46:47], v[46:47], v[96:97]
	v_add_f64_e32 v[82:83], v[82:83], v[107:108]
	;; [unrolled: 1-line block ×7, first 2 shown]
	v_fma_f64 v[78:79], v[32:33], s[0:1], -v[177:178]
	v_fma_f64 v[139:140], v[32:33], s[12:13], v[145:146]
	v_fma_f64 v[141:142], v[86:87], s[36:37], v[187:188]
	v_add_f64_e32 v[20:21], v[26:27], v[20:21]
	v_fma_f64 v[26:27], v[32:33], s[0:1], v[177:178]
	v_fma_f64 v[143:144], v[32:33], s[12:13], -v[145:146]
	v_fma_f64 v[145:146], v[86:87], s[28:29], v[151:152]
	v_fma_f64 v[151:152], v[86:87], s[34:35], v[151:152]
	v_add_f64_e32 v[34:35], v[195:196], v[34:35]
	v_add_f64_e32 v[54:55], v[201:202], v[60:61]
	;; [unrolled: 1-line block ×8, first 2 shown]
	v_fma_f64 v[157:158], v[86:87], s[26:27], v[225:226]
	v_fma_f64 v[62:63], v[86:87], s[18:19], v[147:148]
	v_add_f64_e32 v[52:53], v[129:130], v[76:77]
	v_fma_f64 v[84:85], v[86:87], s[24:25], v[147:148]
	v_add_f64_e32 v[12:13], v[12:13], v[72:73]
	v_add_f64_e32 v[72:73], v[169:170], v[88:89]
	;; [unrolled: 1-line block ×4, first 2 shown]
	v_fma_f64 v[100:101], v[86:87], s[20:21], v[68:69]
	v_fma_f64 v[68:69], v[86:87], s[22:23], v[68:69]
	v_fma_f64 v[86:87], v[32:33], s[6:7], v[149:150]
	v_fma_f64 v[105:106], v[32:33], s[6:7], -v[149:150]
	v_fma_f64 v[107:108], v[32:33], s[4:5], v[155:156]
	v_fma_f64 v[109:110], v[32:33], s[4:5], -v[155:156]
	v_fma_f64 v[111:112], v[32:33], s[10:11], v[153:154]
	;; [unrolled: 2-line block ×3, first 2 shown]
	v_fma_f64 v[121:122], v[32:33], s[2:3], -v[36:37]
	v_add_f64_e32 v[32:33], v[38:39], v[50:51]
	v_add_f64_e32 v[46:47], v[119:120], v[46:47]
	;; [unrolled: 1-line block ×32, first 2 shown]
	v_mov_b32_e32 v103, 0
	v_add_f64_e32 v[34:35], v[159:160], v[52:53]
	v_add_f64_e32 v[52:53], v[10:11], v[4:5]
	scratch_load_b64 v[10:11], off, off th:TH_LOAD_LU ; 8-byte Folded Reload
	v_add_f64_e32 v[22:23], v[141:142], v[38:39]
	v_add_f64_e32 v[38:39], v[84:85], v[54:55]
	;; [unrolled: 1-line block ×6, first 2 shown]
	v_lshlrev_b64_e32 v[4:5], 4, v[102:103]
	v_add_f64_e32 v[16:17], v[139:140], v[36:37]
	v_add_f64_e32 v[36:37], v[113:114], v[46:47]
	;; [unrolled: 1-line block ×11, first 2 shown]
	s_wait_loadcnt 0x0
	v_add_co_u32 v10, vcc_lo, s8, v10
	s_wait_alu 0xfffd
	v_add_co_ci_u32_e32 v11, vcc_lo, s9, v11, vcc_lo
	s_delay_alu instid0(VALU_DEP_2) | instskip(SKIP_1) | instid1(VALU_DEP_2)
	v_add_co_u32 v4, vcc_lo, v10, v4
	s_wait_alu 0xfffd
	v_add_co_ci_u32_e32 v5, vcc_lo, v11, v5, vcc_lo
	s_clause 0xc
	global_store_b128 v[4:5], v[36:39], off offset:224
	global_store_b128 v[4:5], v[32:35], off offset:336
	global_store_b128 v[4:5], v[28:31], off offset:448
	global_store_b128 v[4:5], v[20:23], off offset:560
	global_store_b128 v[4:5], v[12:15], off offset:672
	global_store_b128 v[4:5], v[0:3], off offset:784
	global_store_b128 v[4:5], v[16:19], off offset:896
	global_store_b128 v[4:5], v[24:27], off offset:1008
	global_store_b128 v[4:5], v[40:43], off offset:1120
	global_store_b128 v[4:5], v[44:47], off offset:1232
	global_store_b128 v[4:5], v[48:51], off offset:112
	global_store_b128 v[4:5], v[52:55], off
	global_store_b128 v[4:5], v[6:9], off offset:1344
	s_endpgm
	.section	.rodata,"a",@progbits
	.p2align	6, 0x0
	.amdhsa_kernel fft_rtc_fwd_len91_factors_7_13_wgs_247_tpt_13_dp_ip_CI_unitstride_sbrr_dirReg
		.amdhsa_group_segment_fixed_size 0
		.amdhsa_private_segment_fixed_size 12
		.amdhsa_kernarg_size 88
		.amdhsa_user_sgpr_count 2
		.amdhsa_user_sgpr_dispatch_ptr 0
		.amdhsa_user_sgpr_queue_ptr 0
		.amdhsa_user_sgpr_kernarg_segment_ptr 1
		.amdhsa_user_sgpr_dispatch_id 0
		.amdhsa_user_sgpr_private_segment_size 0
		.amdhsa_wavefront_size32 1
		.amdhsa_uses_dynamic_stack 0
		.amdhsa_enable_private_segment 1
		.amdhsa_system_sgpr_workgroup_id_x 1
		.amdhsa_system_sgpr_workgroup_id_y 0
		.amdhsa_system_sgpr_workgroup_id_z 0
		.amdhsa_system_sgpr_workgroup_info 0
		.amdhsa_system_vgpr_workitem_id 0
		.amdhsa_next_free_vgpr 255
		.amdhsa_next_free_sgpr 40
		.amdhsa_reserve_vcc 1
		.amdhsa_float_round_mode_32 0
		.amdhsa_float_round_mode_16_64 0
		.amdhsa_float_denorm_mode_32 3
		.amdhsa_float_denorm_mode_16_64 3
		.amdhsa_fp16_overflow 0
		.amdhsa_workgroup_processor_mode 1
		.amdhsa_memory_ordered 1
		.amdhsa_forward_progress 0
		.amdhsa_round_robin_scheduling 0
		.amdhsa_exception_fp_ieee_invalid_op 0
		.amdhsa_exception_fp_denorm_src 0
		.amdhsa_exception_fp_ieee_div_zero 0
		.amdhsa_exception_fp_ieee_overflow 0
		.amdhsa_exception_fp_ieee_underflow 0
		.amdhsa_exception_fp_ieee_inexact 0
		.amdhsa_exception_int_div_zero 0
	.end_amdhsa_kernel
	.text
.Lfunc_end0:
	.size	fft_rtc_fwd_len91_factors_7_13_wgs_247_tpt_13_dp_ip_CI_unitstride_sbrr_dirReg, .Lfunc_end0-fft_rtc_fwd_len91_factors_7_13_wgs_247_tpt_13_dp_ip_CI_unitstride_sbrr_dirReg
                                        ; -- End function
	.section	.AMDGPU.csdata,"",@progbits
; Kernel info:
; codeLenInByte = 5724
; NumSgprs: 42
; NumVgprs: 255
; ScratchSize: 12
; MemoryBound: 1
; FloatMode: 240
; IeeeMode: 1
; LDSByteSize: 0 bytes/workgroup (compile time only)
; SGPRBlocks: 5
; VGPRBlocks: 31
; NumSGPRsForWavesPerEU: 42
; NumVGPRsForWavesPerEU: 255
; Occupancy: 5
; WaveLimiterHint : 1
; COMPUTE_PGM_RSRC2:SCRATCH_EN: 1
; COMPUTE_PGM_RSRC2:USER_SGPR: 2
; COMPUTE_PGM_RSRC2:TRAP_HANDLER: 0
; COMPUTE_PGM_RSRC2:TGID_X_EN: 1
; COMPUTE_PGM_RSRC2:TGID_Y_EN: 0
; COMPUTE_PGM_RSRC2:TGID_Z_EN: 0
; COMPUTE_PGM_RSRC2:TIDIG_COMP_CNT: 0
	.text
	.p2alignl 7, 3214868480
	.fill 96, 4, 3214868480
	.type	__hip_cuid_a48629b0734c2661,@object ; @__hip_cuid_a48629b0734c2661
	.section	.bss,"aw",@nobits
	.globl	__hip_cuid_a48629b0734c2661
__hip_cuid_a48629b0734c2661:
	.byte	0                               ; 0x0
	.size	__hip_cuid_a48629b0734c2661, 1

	.ident	"AMD clang version 19.0.0git (https://github.com/RadeonOpenCompute/llvm-project roc-6.4.0 25133 c7fe45cf4b819c5991fe208aaa96edf142730f1d)"
	.section	".note.GNU-stack","",@progbits
	.addrsig
	.addrsig_sym __hip_cuid_a48629b0734c2661
	.amdgpu_metadata
---
amdhsa.kernels:
  - .args:
      - .actual_access:  read_only
        .address_space:  global
        .offset:         0
        .size:           8
        .value_kind:     global_buffer
      - .offset:         8
        .size:           8
        .value_kind:     by_value
      - .actual_access:  read_only
        .address_space:  global
        .offset:         16
        .size:           8
        .value_kind:     global_buffer
      - .actual_access:  read_only
        .address_space:  global
        .offset:         24
        .size:           8
        .value_kind:     global_buffer
      - .offset:         32
        .size:           8
        .value_kind:     by_value
      - .actual_access:  read_only
        .address_space:  global
        .offset:         40
        .size:           8
        .value_kind:     global_buffer
      - .actual_access:  read_only
        .address_space:  global
        .offset:         48
        .size:           8
        .value_kind:     global_buffer
      - .offset:         56
        .size:           4
        .value_kind:     by_value
      - .actual_access:  read_only
        .address_space:  global
        .offset:         64
        .size:           8
        .value_kind:     global_buffer
      - .actual_access:  read_only
        .address_space:  global
        .offset:         72
        .size:           8
        .value_kind:     global_buffer
      - .address_space:  global
        .offset:         80
        .size:           8
        .value_kind:     global_buffer
    .group_segment_fixed_size: 0
    .kernarg_segment_align: 8
    .kernarg_segment_size: 88
    .language:       OpenCL C
    .language_version:
      - 2
      - 0
    .max_flat_workgroup_size: 247
    .name:           fft_rtc_fwd_len91_factors_7_13_wgs_247_tpt_13_dp_ip_CI_unitstride_sbrr_dirReg
    .private_segment_fixed_size: 12
    .sgpr_count:     42
    .sgpr_spill_count: 0
    .symbol:         fft_rtc_fwd_len91_factors_7_13_wgs_247_tpt_13_dp_ip_CI_unitstride_sbrr_dirReg.kd
    .uniform_work_group_size: 1
    .uses_dynamic_stack: false
    .vgpr_count:     255
    .vgpr_spill_count: 2
    .wavefront_size: 32
    .workgroup_processor_mode: 1
amdhsa.target:   amdgcn-amd-amdhsa--gfx1201
amdhsa.version:
  - 1
  - 2
...

	.end_amdgpu_metadata
